;; amdgpu-corpus repo=ROCm/rocFFT kind=compiled arch=gfx1201 opt=O3
	.text
	.amdgcn_target "amdgcn-amd-amdhsa--gfx1201"
	.amdhsa_code_object_version 6
	.protected	fft_rtc_back_len1728_factors_3_6_6_16_wgs_108_tpt_108_halfLds_dp_op_CI_CI_unitstride_sbrr_dirReg ; -- Begin function fft_rtc_back_len1728_factors_3_6_6_16_wgs_108_tpt_108_halfLds_dp_op_CI_CI_unitstride_sbrr_dirReg
	.globl	fft_rtc_back_len1728_factors_3_6_6_16_wgs_108_tpt_108_halfLds_dp_op_CI_CI_unitstride_sbrr_dirReg
	.p2align	8
	.type	fft_rtc_back_len1728_factors_3_6_6_16_wgs_108_tpt_108_halfLds_dp_op_CI_CI_unitstride_sbrr_dirReg,@function
fft_rtc_back_len1728_factors_3_6_6_16_wgs_108_tpt_108_halfLds_dp_op_CI_CI_unitstride_sbrr_dirReg: ; @fft_rtc_back_len1728_factors_3_6_6_16_wgs_108_tpt_108_halfLds_dp_op_CI_CI_unitstride_sbrr_dirReg
; %bb.0:
	s_clause 0x2
	s_load_b128 s[8:11], s[0:1], 0x0
	s_load_b128 s[4:7], s[0:1], 0x58
	;; [unrolled: 1-line block ×3, first 2 shown]
	v_mul_u32_u24_e32 v1, 0x25f, v0
	v_mov_b32_e32 v4, 0
	v_mov_b32_e32 v5, 0
	s_delay_alu instid0(VALU_DEP_3) | instskip(NEXT) | instid1(VALU_DEP_1)
	v_lshrrev_b32_e32 v2, 16, v1
	v_dual_mov_b32 v1, 0 :: v_dual_add_nc_u32 v6, ttmp9, v2
	s_delay_alu instid0(VALU_DEP_1) | instskip(SKIP_2) | instid1(VALU_DEP_1)
	v_mov_b32_e32 v7, v1
	s_wait_kmcnt 0x0
	v_cmp_lt_u64_e64 s2, s[10:11], 2
	s_and_b32 vcc_lo, exec_lo, s2
	s_cbranch_vccnz .LBB0_8
; %bb.1:
	s_load_b64 s[2:3], s[0:1], 0x10
	v_mov_b32_e32 v4, 0
	v_mov_b32_e32 v5, 0
	s_add_nc_u64 s[16:17], s[14:15], 8
	s_add_nc_u64 s[18:19], s[12:13], 8
	s_mov_b64 s[20:21], 1
	s_delay_alu instid0(VALU_DEP_1)
	v_dual_mov_b32 v95, v5 :: v_dual_mov_b32 v94, v4
	s_wait_kmcnt 0x0
	s_add_nc_u64 s[22:23], s[2:3], 8
	s_mov_b32 s3, 0
.LBB0_2:                                ; =>This Inner Loop Header: Depth=1
	s_load_b64 s[24:25], s[22:23], 0x0
                                        ; implicit-def: $vgpr96_vgpr97
	s_mov_b32 s2, exec_lo
	s_wait_kmcnt 0x0
	v_or_b32_e32 v2, s25, v7
	s_delay_alu instid0(VALU_DEP_1)
	v_cmpx_ne_u64_e32 0, v[1:2]
	s_wait_alu 0xfffe
	s_xor_b32 s26, exec_lo, s2
	s_cbranch_execz .LBB0_4
; %bb.3:                                ;   in Loop: Header=BB0_2 Depth=1
	s_cvt_f32_u32 s2, s24
	s_cvt_f32_u32 s27, s25
	s_sub_nc_u64 s[30:31], 0, s[24:25]
	s_wait_alu 0xfffe
	s_delay_alu instid0(SALU_CYCLE_1) | instskip(SKIP_1) | instid1(SALU_CYCLE_2)
	s_fmamk_f32 s2, s27, 0x4f800000, s2
	s_wait_alu 0xfffe
	v_s_rcp_f32 s2, s2
	s_delay_alu instid0(TRANS32_DEP_1) | instskip(SKIP_1) | instid1(SALU_CYCLE_2)
	s_mul_f32 s2, s2, 0x5f7ffffc
	s_wait_alu 0xfffe
	s_mul_f32 s27, s2, 0x2f800000
	s_wait_alu 0xfffe
	s_delay_alu instid0(SALU_CYCLE_2) | instskip(SKIP_1) | instid1(SALU_CYCLE_2)
	s_trunc_f32 s27, s27
	s_wait_alu 0xfffe
	s_fmamk_f32 s2, s27, 0xcf800000, s2
	s_cvt_u32_f32 s29, s27
	s_wait_alu 0xfffe
	s_delay_alu instid0(SALU_CYCLE_1) | instskip(SKIP_1) | instid1(SALU_CYCLE_2)
	s_cvt_u32_f32 s28, s2
	s_wait_alu 0xfffe
	s_mul_u64 s[34:35], s[30:31], s[28:29]
	s_wait_alu 0xfffe
	s_mul_hi_u32 s37, s28, s35
	s_mul_i32 s36, s28, s35
	s_mul_hi_u32 s2, s28, s34
	s_mul_i32 s33, s29, s34
	s_wait_alu 0xfffe
	s_add_nc_u64 s[36:37], s[2:3], s[36:37]
	s_mul_hi_u32 s27, s29, s34
	s_mul_hi_u32 s38, s29, s35
	s_add_co_u32 s2, s36, s33
	s_wait_alu 0xfffe
	s_add_co_ci_u32 s2, s37, s27
	s_mul_i32 s34, s29, s35
	s_add_co_ci_u32 s35, s38, 0
	s_wait_alu 0xfffe
	s_add_nc_u64 s[34:35], s[2:3], s[34:35]
	s_wait_alu 0xfffe
	v_add_co_u32 v2, s2, s28, s34
	s_delay_alu instid0(VALU_DEP_1) | instskip(SKIP_1) | instid1(VALU_DEP_1)
	s_cmp_lg_u32 s2, 0
	s_add_co_ci_u32 s29, s29, s35
	v_readfirstlane_b32 s28, v2
	s_wait_alu 0xfffe
	s_delay_alu instid0(VALU_DEP_1)
	s_mul_u64 s[30:31], s[30:31], s[28:29]
	s_wait_alu 0xfffe
	s_mul_hi_u32 s35, s28, s31
	s_mul_i32 s34, s28, s31
	s_mul_hi_u32 s2, s28, s30
	s_mul_i32 s33, s29, s30
	s_wait_alu 0xfffe
	s_add_nc_u64 s[34:35], s[2:3], s[34:35]
	s_mul_hi_u32 s27, s29, s30
	s_mul_hi_u32 s28, s29, s31
	s_wait_alu 0xfffe
	s_add_co_u32 s2, s34, s33
	s_add_co_ci_u32 s2, s35, s27
	s_mul_i32 s30, s29, s31
	s_add_co_ci_u32 s31, s28, 0
	s_wait_alu 0xfffe
	s_add_nc_u64 s[30:31], s[2:3], s[30:31]
	s_wait_alu 0xfffe
	v_add_co_u32 v8, s2, v2, s30
	s_delay_alu instid0(VALU_DEP_1) | instskip(SKIP_1) | instid1(VALU_DEP_1)
	s_cmp_lg_u32 s2, 0
	s_add_co_ci_u32 s2, s29, s31
	v_mul_hi_u32 v12, v6, v8
	s_wait_alu 0xfffe
	v_mad_co_u64_u32 v[2:3], null, v6, s2, 0
	v_mad_co_u64_u32 v[8:9], null, v7, v8, 0
	;; [unrolled: 1-line block ×3, first 2 shown]
	s_delay_alu instid0(VALU_DEP_3) | instskip(SKIP_1) | instid1(VALU_DEP_4)
	v_add_co_u32 v2, vcc_lo, v12, v2
	s_wait_alu 0xfffd
	v_add_co_ci_u32_e32 v3, vcc_lo, 0, v3, vcc_lo
	s_delay_alu instid0(VALU_DEP_2) | instskip(SKIP_1) | instid1(VALU_DEP_2)
	v_add_co_u32 v2, vcc_lo, v2, v8
	s_wait_alu 0xfffd
	v_add_co_ci_u32_e32 v2, vcc_lo, v3, v9, vcc_lo
	s_wait_alu 0xfffd
	v_add_co_ci_u32_e32 v3, vcc_lo, 0, v11, vcc_lo
	s_delay_alu instid0(VALU_DEP_2) | instskip(SKIP_1) | instid1(VALU_DEP_2)
	v_add_co_u32 v8, vcc_lo, v2, v10
	s_wait_alu 0xfffd
	v_add_co_ci_u32_e32 v9, vcc_lo, 0, v3, vcc_lo
	s_delay_alu instid0(VALU_DEP_2) | instskip(SKIP_1) | instid1(VALU_DEP_3)
	v_mul_lo_u32 v10, s25, v8
	v_mad_co_u64_u32 v[2:3], null, s24, v8, 0
	v_mul_lo_u32 v11, s24, v9
	s_delay_alu instid0(VALU_DEP_2) | instskip(NEXT) | instid1(VALU_DEP_2)
	v_sub_co_u32 v2, vcc_lo, v6, v2
	v_add3_u32 v3, v3, v11, v10
	s_delay_alu instid0(VALU_DEP_1) | instskip(SKIP_1) | instid1(VALU_DEP_1)
	v_sub_nc_u32_e32 v10, v7, v3
	s_wait_alu 0xfffd
	v_subrev_co_ci_u32_e64 v10, s2, s25, v10, vcc_lo
	v_add_co_u32 v11, s2, v8, 2
	s_wait_alu 0xf1ff
	v_add_co_ci_u32_e64 v12, s2, 0, v9, s2
	v_sub_co_u32 v13, s2, v2, s24
	v_sub_co_ci_u32_e32 v3, vcc_lo, v7, v3, vcc_lo
	s_wait_alu 0xf1ff
	v_subrev_co_ci_u32_e64 v10, s2, 0, v10, s2
	s_delay_alu instid0(VALU_DEP_3) | instskip(NEXT) | instid1(VALU_DEP_3)
	v_cmp_le_u32_e32 vcc_lo, s24, v13
	v_cmp_eq_u32_e64 s2, s25, v3
	s_wait_alu 0xfffd
	v_cndmask_b32_e64 v13, 0, -1, vcc_lo
	v_cmp_le_u32_e32 vcc_lo, s25, v10
	s_wait_alu 0xfffd
	v_cndmask_b32_e64 v14, 0, -1, vcc_lo
	v_cmp_le_u32_e32 vcc_lo, s24, v2
	;; [unrolled: 3-line block ×3, first 2 shown]
	s_wait_alu 0xfffd
	v_cndmask_b32_e64 v15, 0, -1, vcc_lo
	v_cmp_eq_u32_e32 vcc_lo, s25, v10
	s_wait_alu 0xf1ff
	s_delay_alu instid0(VALU_DEP_2)
	v_cndmask_b32_e64 v2, v15, v2, s2
	s_wait_alu 0xfffd
	v_cndmask_b32_e32 v10, v14, v13, vcc_lo
	v_add_co_u32 v13, vcc_lo, v8, 1
	s_wait_alu 0xfffd
	v_add_co_ci_u32_e32 v14, vcc_lo, 0, v9, vcc_lo
	s_delay_alu instid0(VALU_DEP_3) | instskip(SKIP_1) | instid1(VALU_DEP_2)
	v_cmp_ne_u32_e32 vcc_lo, 0, v10
	s_wait_alu 0xfffd
	v_dual_cndmask_b32 v3, v14, v12 :: v_dual_cndmask_b32 v10, v13, v11
	v_cmp_ne_u32_e32 vcc_lo, 0, v2
	s_wait_alu 0xfffd
	s_delay_alu instid0(VALU_DEP_2)
	v_dual_cndmask_b32 v97, v9, v3 :: v_dual_cndmask_b32 v96, v8, v10
.LBB0_4:                                ;   in Loop: Header=BB0_2 Depth=1
	s_wait_alu 0xfffe
	s_and_not1_saveexec_b32 s2, s26
	s_cbranch_execz .LBB0_6
; %bb.5:                                ;   in Loop: Header=BB0_2 Depth=1
	v_cvt_f32_u32_e32 v2, s24
	s_sub_co_i32 s26, 0, s24
	v_mov_b32_e32 v97, v1
	s_delay_alu instid0(VALU_DEP_2) | instskip(NEXT) | instid1(TRANS32_DEP_1)
	v_rcp_iflag_f32_e32 v2, v2
	v_mul_f32_e32 v2, 0x4f7ffffe, v2
	s_delay_alu instid0(VALU_DEP_1) | instskip(SKIP_1) | instid1(VALU_DEP_1)
	v_cvt_u32_f32_e32 v2, v2
	s_wait_alu 0xfffe
	v_mul_lo_u32 v3, s26, v2
	s_delay_alu instid0(VALU_DEP_1) | instskip(NEXT) | instid1(VALU_DEP_1)
	v_mul_hi_u32 v3, v2, v3
	v_add_nc_u32_e32 v2, v2, v3
	s_delay_alu instid0(VALU_DEP_1) | instskip(NEXT) | instid1(VALU_DEP_1)
	v_mul_hi_u32 v2, v6, v2
	v_mul_lo_u32 v3, v2, s24
	v_add_nc_u32_e32 v8, 1, v2
	s_delay_alu instid0(VALU_DEP_2) | instskip(NEXT) | instid1(VALU_DEP_1)
	v_sub_nc_u32_e32 v3, v6, v3
	v_subrev_nc_u32_e32 v9, s24, v3
	v_cmp_le_u32_e32 vcc_lo, s24, v3
	s_wait_alu 0xfffd
	s_delay_alu instid0(VALU_DEP_2) | instskip(NEXT) | instid1(VALU_DEP_1)
	v_dual_cndmask_b32 v3, v3, v9 :: v_dual_cndmask_b32 v2, v2, v8
	v_cmp_le_u32_e32 vcc_lo, s24, v3
	s_delay_alu instid0(VALU_DEP_2) | instskip(SKIP_1) | instid1(VALU_DEP_1)
	v_add_nc_u32_e32 v8, 1, v2
	s_wait_alu 0xfffd
	v_cndmask_b32_e32 v96, v2, v8, vcc_lo
.LBB0_6:                                ;   in Loop: Header=BB0_2 Depth=1
	s_wait_alu 0xfffe
	s_or_b32 exec_lo, exec_lo, s2
	v_mul_lo_u32 v8, v97, s24
	s_delay_alu instid0(VALU_DEP_2)
	v_mul_lo_u32 v9, v96, s25
	s_load_b64 s[26:27], s[18:19], 0x0
	v_mad_co_u64_u32 v[2:3], null, v96, s24, 0
	s_load_b64 s[24:25], s[16:17], 0x0
	s_add_nc_u64 s[20:21], s[20:21], 1
	s_add_nc_u64 s[16:17], s[16:17], 8
	s_wait_alu 0xfffe
	v_cmp_ge_u64_e64 s2, s[20:21], s[10:11]
	s_add_nc_u64 s[18:19], s[18:19], 8
	s_add_nc_u64 s[22:23], s[22:23], 8
	v_add3_u32 v3, v3, v9, v8
	v_sub_co_u32 v2, vcc_lo, v6, v2
	s_wait_alu 0xfffd
	s_delay_alu instid0(VALU_DEP_2) | instskip(SKIP_2) | instid1(VALU_DEP_1)
	v_sub_co_ci_u32_e32 v3, vcc_lo, v7, v3, vcc_lo
	s_and_b32 vcc_lo, exec_lo, s2
	s_wait_kmcnt 0x0
	v_mul_lo_u32 v6, s26, v3
	v_mul_lo_u32 v7, s27, v2
	v_mad_co_u64_u32 v[4:5], null, s26, v2, v[4:5]
	v_mul_lo_u32 v3, s24, v3
	v_mul_lo_u32 v8, s25, v2
	v_mad_co_u64_u32 v[94:95], null, s24, v2, v[94:95]
	s_delay_alu instid0(VALU_DEP_4) | instskip(NEXT) | instid1(VALU_DEP_2)
	v_add3_u32 v5, v7, v5, v6
	v_add3_u32 v95, v8, v95, v3
	s_wait_alu 0xfffe
	s_cbranch_vccnz .LBB0_9
; %bb.7:                                ;   in Loop: Header=BB0_2 Depth=1
	v_dual_mov_b32 v6, v96 :: v_dual_mov_b32 v7, v97
	s_branch .LBB0_2
.LBB0_8:
	v_dual_mov_b32 v95, v5 :: v_dual_mov_b32 v94, v4
	v_dual_mov_b32 v97, v7 :: v_dual_mov_b32 v96, v6
.LBB0_9:
	s_load_b64 s[0:1], s[0:1], 0x28
	v_mul_hi_u32 v1, 0x25ed098, v0
	s_lshl_b64 s[10:11], s[10:11], 3
                                        ; implicit-def: $vgpr113
	s_wait_alu 0xfffe
	s_add_nc_u64 s[2:3], s[14:15], s[10:11]
                                        ; implicit-def: $sgpr14
	s_wait_kmcnt 0x0
	v_cmp_gt_u64_e32 vcc_lo, s[0:1], v[96:97]
	v_cmp_le_u64_e64 s0, s[0:1], v[96:97]
	s_delay_alu instid0(VALU_DEP_1)
	s_and_saveexec_b32 s1, s0
	s_wait_alu 0xfffe
	s_xor_b32 s0, exec_lo, s1
; %bb.10:
	v_mul_u32_u24_e32 v1, 0x6c, v1
	s_mov_b32 s14, 0
                                        ; implicit-def: $vgpr4_vgpr5
	s_delay_alu instid0(VALU_DEP_1)
	v_sub_nc_u32_e32 v113, v0, v1
                                        ; implicit-def: $vgpr1
                                        ; implicit-def: $vgpr0
; %bb.11:
	s_wait_alu 0xfffe
	s_or_saveexec_b32 s1, s0
	s_load_b64 s[2:3], s[2:3], 0x0
	v_mov_b32_e32 v98, s14
                                        ; implicit-def: $vgpr64_vgpr65
                                        ; implicit-def: $vgpr2_vgpr3
                                        ; implicit-def: $vgpr28_vgpr29
                                        ; implicit-def: $vgpr40_vgpr41
                                        ; implicit-def: $vgpr32_vgpr33
                                        ; implicit-def: $vgpr48_vgpr49
                                        ; implicit-def: $vgpr44_vgpr45
                                        ; implicit-def: $vgpr76_vgpr77
                                        ; implicit-def: $vgpr56_vgpr57
                                        ; implicit-def: $vgpr68_vgpr69
                                        ; implicit-def: $vgpr80_vgpr81
                                        ; implicit-def: $vgpr72_vgpr73
                                        ; implicit-def: $vgpr92_vgpr93
                                        ; implicit-def: $vgpr88_vgpr89
                                        ; implicit-def: $vgpr84_vgpr85
                                        ; implicit-def: $vgpr60_vgpr61
                                        ; implicit-def: $vgpr52_vgpr53
                                        ; implicit-def: $vgpr36_vgpr37
	s_xor_b32 exec_lo, exec_lo, s1
	s_cbranch_execz .LBB0_15
; %bb.12:
	s_add_nc_u64 s[10:11], s[12:13], s[10:11]
                                        ; implicit-def: $vgpr82_vgpr83
                                        ; implicit-def: $vgpr86_vgpr87
                                        ; implicit-def: $vgpr90_vgpr91
	s_load_b64 s[10:11], s[10:11], 0x0
	s_wait_kmcnt 0x0
	v_mul_lo_u32 v6, s11, v96
	v_mul_lo_u32 v7, s10, v97
	v_mad_co_u64_u32 v[2:3], null, s10, v96, 0
	s_delay_alu instid0(VALU_DEP_1) | instskip(SKIP_1) | instid1(VALU_DEP_2)
	v_add3_u32 v3, v3, v7, v6
	v_mul_u32_u24_e32 v6, 0x6c, v1
	v_lshlrev_b64_e32 v[1:2], 4, v[2:3]
	v_lshlrev_b64_e32 v[3:4], 4, v[4:5]
	s_delay_alu instid0(VALU_DEP_3) | instskip(NEXT) | instid1(VALU_DEP_3)
	v_sub_nc_u32_e32 v113, v0, v6
	v_add_co_u32 v0, s0, s4, v1
	s_wait_alu 0xf1ff
	s_delay_alu instid0(VALU_DEP_4) | instskip(NEXT) | instid1(VALU_DEP_3)
	v_add_co_ci_u32_e64 v1, s0, s5, v2, s0
	v_lshlrev_b32_e32 v2, 4, v113
	s_delay_alu instid0(VALU_DEP_3) | instskip(SKIP_1) | instid1(VALU_DEP_3)
	v_add_co_u32 v0, s0, v0, v3
	s_wait_alu 0xf1ff
	v_add_co_ci_u32_e64 v1, s0, v1, v4, s0
	s_mov_b32 s4, exec_lo
	s_delay_alu instid0(VALU_DEP_2) | instskip(SKIP_1) | instid1(VALU_DEP_2)
	v_add_co_u32 v4, s0, v0, v2
	s_wait_alu 0xf1ff
	v_add_co_ci_u32_e64 v5, s0, 0, v1, s0
	s_clause 0xe
	global_load_b128 v[34:37], v[4:5], off
	global_load_b128 v[26:29], v[4:5], off offset:1728
	global_load_b128 v[0:3], v[4:5], off offset:18432
	;; [unrolled: 1-line block ×14, first 2 shown]
	v_cmpx_gt_u32_e32 36, v113
; %bb.13:
	s_clause 0x2
	global_load_b128 v[82:85], v[4:5], off offset:8640
	global_load_b128 v[86:89], v[4:5], off offset:17856
	;; [unrolled: 1-line block ×3, first 2 shown]
; %bb.14:
	s_wait_alu 0xfffe
	s_or_b32 exec_lo, exec_lo, s4
	v_mov_b32_e32 v98, v113
.LBB0_15:
	s_or_b32 exec_lo, exec_lo, s1
	s_wait_loadcnt 0xa
	v_add_f64_e32 v[4:5], v[38:39], v[30:31]
	s_wait_loadcnt 0x2
	v_add_f64_e32 v[8:9], v[74:75], v[54:55]
	v_add_f64_e32 v[10:11], v[62:63], v[0:1]
	s_wait_loadcnt 0x0
	v_add_f64_e32 v[12:13], v[78:79], v[70:71]
	v_add_f64_e32 v[14:15], v[90:91], v[86:87]
	;; [unrolled: 1-line block ×4, first 2 shown]
	v_add_f64_e64 v[18:19], v[40:41], -v[32:33]
	v_add_f64_e32 v[99:100], v[66:67], v[78:79]
	v_add_f64_e64 v[101:102], v[76:77], -v[56:57]
	v_add_f64_e32 v[105:106], v[62:63], v[34:35]
	v_add_f64_e32 v[107:108], v[86:87], v[82:83]
	;; [unrolled: 1-line block ×3, first 2 shown]
	v_add_f64_e64 v[22:23], v[48:49], -v[44:45]
	v_add_f64_e64 v[103:104], v[64:65], -v[2:3]
	v_add_f64_e32 v[24:25], v[74:75], v[58:59]
	s_mov_b32 s0, 0xe8584caa
	s_mov_b32 s1, 0xbfebb67a
	;; [unrolled: 1-line block ×3, first 2 shown]
	s_wait_alu 0xfffe
	s_mov_b32 s4, s0
	v_fma_f64 v[4:5], v[4:5], -0.5, v[26:27]
	v_fma_f64 v[8:9], v[8:9], -0.5, v[58:59]
	;; [unrolled: 1-line block ×3, first 2 shown]
	v_add_f64_e64 v[26:27], v[80:81], -v[72:73]
	v_fma_f64 v[12:13], v[12:13], -0.5, v[66:67]
	v_add_f64_e64 v[34:35], v[88:89], -v[92:93]
	v_fma_f64 v[14:15], v[14:15], -0.5, v[82:83]
	v_fma_f64 v[6:7], v[6:7], -0.5, v[50:51]
	v_add_f64_e32 v[16:17], v[16:17], v[30:31]
	v_add_f64_e32 v[50:51], v[99:100], v[70:71]
	v_add_f64_e32 v[109:110], v[0:1], v[105:106]
	v_add_f64_e32 v[99:100], v[90:91], v[107:108]
	v_add_f64_e32 v[20:21], v[42:43], v[20:21]
	v_add_f64_e32 v[24:25], v[54:55], v[24:25]
	v_fma_f64 v[107:108], v[18:19], s[0:1], v[4:5]
	v_fma_f64 v[114:115], v[101:102], s[0:1], v[8:9]
	s_wait_alu 0xfffe
	v_fma_f64 v[8:9], v[101:102], s[4:5], v[8:9]
	v_fma_f64 v[116:117], v[103:104], s[0:1], v[10:11]
	;; [unrolled: 1-line block ×10, first 2 shown]
	v_mad_u32_u24 v34, v113, 24, 0
	v_cmp_gt_u32_e64 s1, 36, v113
	s_delay_alu instid0(VALU_DEP_2)
	v_add_nc_u32_e32 v106, 0xa20, v34
	v_add_nc_u32_e32 v105, 0x1440, v34
	;; [unrolled: 1-line block ×5, first 2 shown]
	ds_store_2addr_b64 v106, v[16:17], v[107:108] offset1:1
	ds_store_2addr_b64 v105, v[20:21], v[111:112] offset1:1
	;; [unrolled: 1-line block ×3, first 2 shown]
	ds_store_b64 v34, v[10:11] offset:16
	ds_store_2addr_b64 v104, v[24:25], v[114:115] offset1:1
	ds_store_2addr_b64 v103, v[50:51], v[58:59] offset1:1
	ds_store_b64 v34, v[4:5] offset:2608
	ds_store_b64 v34, v[6:7] offset:5200
	;; [unrolled: 1-line block ×4, first 2 shown]
	s_and_saveexec_b32 s0, s1
	s_cbranch_execz .LBB0_17
; %bb.16:
	ds_store_2addr_b64 v35, v[99:100], v[82:83] offset1:1
	ds_store_b64 v34, v[101:102] offset:12976
.LBB0_17:
	s_wait_alu 0xfffe
	s_or_b32 exec_lo, exec_lo, s0
	v_lshlrev_b32_e32 v4, 4, v113
	global_wb scope:SCOPE_SE
	s_wait_dscnt 0x0
	s_wait_kmcnt 0x0
	s_barrier_signal -1
	s_barrier_wait -1
	global_inv scope:SCOPE_SE
	v_sub_nc_u32_e32 v114, v34, v4
	v_cmp_gt_u32_e64 s0, 0x48, v113
	s_delay_alu instid0(VALU_DEP_2)
	v_add_nc_u32_e32 v8, 0x800, v114
	v_add_nc_u32_e32 v12, 0x1000, v114
	;; [unrolled: 1-line block ×5, first 2 shown]
	ds_load_2addr_b64 v[4:7], v114 offset1:108
	ds_load_2addr_b64 v[8:11], v8 offset0:32 offset1:140
	ds_load_2addr_b64 v[12:15], v12 offset0:64 offset1:172
	ds_load_2addr_b64 v[24:27], v16 offset0:96 offset1:204
	ds_load_2addr_b64 v[16:19], v17 offset0:128 offset1:236
	ds_load_2addr_b64 v[20:23], v20 offset0:32 offset1:140
	s_and_saveexec_b32 s4, s0
	s_cbranch_execz .LBB0_19
; %bb.18:
	ds_load_b64 v[50:51], v114 offset:1728
	ds_load_b64 v[58:59], v114 offset:4032
	;; [unrolled: 1-line block ×6, first 2 shown]
.LBB0_19:
	s_wait_alu 0xfffe
	s_or_b32 exec_lo, exec_lo, s4
	v_add_f64_e32 v[107:108], v[64:65], v[2:3]
	v_add_f64_e32 v[109:110], v[40:41], v[32:33]
	;; [unrolled: 1-line block ×7, first 2 shown]
	v_add_f64_e64 v[0:1], v[62:63], -v[0:1]
	v_add_f64_e32 v[40:41], v[28:29], v[40:41]
	v_add_f64_e64 v[30:31], v[38:39], -v[30:31]
	v_add_f64_e32 v[38:39], v[48:49], v[52:53]
	;; [unrolled: 2-line block ×3, first 2 shown]
	v_add_f64_e32 v[48:49], v[68:69], v[80:81]
	v_add_f64_e32 v[62:63], v[88:89], v[84:85]
	v_add_f64_e64 v[54:55], v[74:75], -v[54:55]
	v_add_f64_e64 v[70:71], v[78:79], -v[70:71]
	;; [unrolled: 1-line block ×3, first 2 shown]
	s_mov_b32 s4, 0xe8584caa
	s_mov_b32 s5, 0x3febb67a
	;; [unrolled: 1-line block ×3, first 2 shown]
	s_wait_alu 0xfffe
	s_mov_b32 s10, s4
	global_wb scope:SCOPE_SE
	s_wait_dscnt 0x0
	s_barrier_signal -1
	s_barrier_wait -1
	global_inv scope:SCOPE_SE
	v_fma_f64 v[36:37], v[107:108], -0.5, v[36:37]
	v_fma_f64 v[28:29], v[109:110], -0.5, v[28:29]
	;; [unrolled: 1-line block ×6, first 2 shown]
	v_add_f64_e32 v[2:3], v[2:3], v[64:65]
	v_add_f64_e32 v[32:33], v[40:41], v[32:33]
	;; [unrolled: 1-line block ×6, first 2 shown]
	v_fma_f64 v[44:45], v[0:1], s[4:5], v[36:37]
	s_wait_alu 0xfffe
	v_fma_f64 v[0:1], v[0:1], s[10:11], v[36:37]
	v_fma_f64 v[36:37], v[30:31], s[4:5], v[28:29]
	;; [unrolled: 1-line block ×11, first 2 shown]
	ds_store_2addr_b64 v34, v[2:3], v[44:45] offset1:1
	ds_store_b64 v34, v[0:1] offset:16
	ds_store_2addr_b64 v106, v[32:33], v[36:37] offset1:1
	ds_store_2addr_b64 v105, v[38:39], v[30:31] offset1:1
	;; [unrolled: 1-line block ×4, first 2 shown]
	ds_store_b64 v34, v[28:29] offset:2608
	ds_store_b64 v34, v[42:43] offset:5200
	;; [unrolled: 1-line block ×4, first 2 shown]
	s_and_saveexec_b32 s4, s1
	s_cbranch_execz .LBB0_21
; %bb.20:
	ds_store_2addr_b64 v35, v[60:61], v[54:55] offset1:1
	ds_store_b64 v34, v[62:63] offset:12976
.LBB0_21:
	s_wait_alu 0xfffe
	s_or_b32 exec_lo, exec_lo, s4
	v_add_nc_u32_e32 v28, 0x800, v114
	v_add_nc_u32_e32 v29, 0x1000, v114
	;; [unrolled: 1-line block ×5, first 2 shown]
	global_wb scope:SCOPE_SE
	s_wait_dscnt 0x0
	s_barrier_signal -1
	s_barrier_wait -1
	global_inv scope:SCOPE_SE
	ds_load_2addr_b64 v[0:3], v114 offset1:108
	ds_load_2addr_b64 v[36:39], v28 offset0:32 offset1:140
	ds_load_2addr_b64 v[28:31], v29 offset0:64 offset1:172
	ds_load_2addr_b64 v[40:43], v32 offset0:96 offset1:204
	ds_load_2addr_b64 v[32:35], v33 offset0:128 offset1:236
	ds_load_2addr_b64 v[44:47], v44 offset0:32 offset1:140
	s_and_saveexec_b32 s1, s0
	s_cbranch_execz .LBB0_23
; %bb.22:
	ds_load_b64 v[48:49], v114 offset:1728
	ds_load_b64 v[56:57], v114 offset:4032
	;; [unrolled: 1-line block ×6, first 2 shown]
.LBB0_23:
	s_wait_alu 0xfffe
	s_or_b32 exec_lo, exec_lo, s1
	v_add_nc_u16 v116, v113, 0x6c
	v_and_b32_e32 v119, 0xff, v113
	v_add_nc_u32_e32 v117, 0xd8, v113
	s_mov_b32 s4, 0xe8584caa
	s_mov_b32 s5, 0xbfebb67a
	v_and_b32_e32 v120, 0xff, v116
	v_mul_lo_u16 v64, 0xab, v119
	v_and_b32_e32 v118, 0xffff, v117
	s_mov_b32 s11, 0x3febb67a
	s_wait_alu 0xfffe
	s_mov_b32 s10, s4
	v_mul_lo_u16 v65, 0xab, v120
	v_lshrrev_b16 v115, 9, v64
	v_mul_u32_u24_e32 v64, 0xaaab, v118
	s_delay_alu instid0(VALU_DEP_3) | instskip(NEXT) | instid1(VALU_DEP_3)
	v_lshrrev_b16 v163, 9, v65
	v_mul_lo_u16 v65, v115, 3
	s_delay_alu instid0(VALU_DEP_3) | instskip(NEXT) | instid1(VALU_DEP_3)
	v_lshrrev_b32_e32 v164, 17, v64
	v_mul_lo_u16 v64, v163, 3
	s_delay_alu instid0(VALU_DEP_3) | instskip(NEXT) | instid1(VALU_DEP_3)
	v_sub_nc_u16 v65, v113, v65
	v_mul_lo_u16 v68, v164, 3
	s_delay_alu instid0(VALU_DEP_3) | instskip(NEXT) | instid1(VALU_DEP_3)
	v_sub_nc_u16 v64, v116, v64
	v_and_b32_e32 v165, 0xff, v65
	s_delay_alu instid0(VALU_DEP_3) | instskip(NEXT) | instid1(VALU_DEP_3)
	v_sub_nc_u16 v65, v117, v68
	v_and_b32_e32 v166, 0xff, v64
	s_delay_alu instid0(VALU_DEP_3) | instskip(NEXT) | instid1(VALU_DEP_3)
	v_mul_u32_u24_e32 v64, 5, v165
	v_and_b32_e32 v167, 0xffff, v65
	s_delay_alu instid0(VALU_DEP_3) | instskip(NEXT) | instid1(VALU_DEP_3)
	v_mul_u32_u24_e32 v65, 5, v166
	v_lshlrev_b32_e32 v64, 4, v64
	s_delay_alu instid0(VALU_DEP_3)
	v_mul_u32_u24_e32 v68, 5, v167
	s_clause 0x1
	global_load_b128 v[70:73], v64, s[8:9] offset:32
	global_load_b128 v[74:77], v64, s[8:9] offset:64
	v_lshlrev_b32_e32 v65, 4, v65
	v_lshlrev_b32_e32 v68, 4, v68
	s_clause 0xc
	global_load_b128 v[78:81], v65, s[8:9] offset:32
	global_load_b128 v[84:87], v65, s[8:9] offset:64
	;; [unrolled: 1-line block ×4, first 2 shown]
	global_load_b128 v[107:110], v64, s[8:9]
	global_load_b128 v[121:124], v65, s[8:9]
	;; [unrolled: 1-line block ×3, first 2 shown]
	global_load_b128 v[129:132], v64, s[8:9] offset:16
	global_load_b128 v[133:136], v64, s[8:9] offset:48
	;; [unrolled: 1-line block ×6, first 2 shown]
	global_wb scope:SCOPE_SE
	s_wait_loadcnt_dscnt 0x0
	s_barrier_signal -1
	s_barrier_wait -1
	global_inv scope:SCOPE_SE
	v_mul_f64_e32 v[92:93], v[26:27], v[80:81]
	v_mul_f64_e32 v[111:112], v[22:23], v[86:87]
	;; [unrolled: 1-line block ×15, first 2 shown]
	v_fma_f64 v[64:65], v[40:41], v[70:71], -v[64:65]
	v_fma_f64 v[40:41], v[44:45], v[74:75], -v[68:69]
	;; [unrolled: 1-line block ×4, first 2 shown]
	v_mul_f64_e32 v[92:93], v[62:63], v[105:106]
	v_mul_f64_e32 v[105:106], v[58:59], v[127:128]
	v_fma_f64 v[46:47], v[60:61], v[88:89], -v[153:154]
	v_fma_f64 v[44:45], v[62:63], v[103:104], -v[155:156]
	v_mul_f64_e32 v[60:61], v[36:37], v[109:110]
	v_mul_f64_e32 v[109:110], v[28:29], v[131:132]
	;; [unrolled: 1-line block ×3, first 2 shown]
	v_fma_f64 v[24:25], v[24:25], v[70:71], v[72:73]
	v_mul_f64_e32 v[70:71], v[30:31], v[139:140]
	v_mul_f64_e32 v[153:154], v[34:35], v[143:144]
	v_fma_f64 v[20:21], v[20:21], v[74:75], v[76:77]
	v_mul_f64_e32 v[155:156], v[52:53], v[147:148]
	v_fma_f64 v[36:37], v[36:37], v[107:108], -v[157:158]
	v_fma_f64 v[26:27], v[26:27], v[78:79], v[80:81]
	v_mul_f64_e32 v[127:128], v[56:57], v[127:128]
	v_fma_f64 v[22:23], v[22:23], v[84:85], v[86:87]
	v_fma_f64 v[62:63], v[38:39], v[121:122], -v[159:160]
	v_fma_f64 v[86:87], v[99:100], v[88:89], v[90:91]
	v_mul_f64_e32 v[88:89], v[12:13], v[131:132]
	v_mul_f64_e32 v[90:91], v[16:17], v[135:136]
	v_mul_f64_e32 v[99:100], v[18:19], v[143:144]
	v_fma_f64 v[10:11], v[10:11], v[121:122], v[123:124]
	v_add_f64_e32 v[80:81], v[64:65], v[40:41]
	v_add_f64_e32 v[84:85], v[68:69], v[42:43]
	v_fma_f64 v[157:158], v[101:102], v[103:104], v[92:93]
	v_fma_f64 v[38:39], v[56:57], v[125:126], -v[105:106]
	v_mul_f64_e32 v[92:93], v[14:15], v[139:140]
	v_add_f64_e32 v[56:57], v[46:47], v[44:45]
	v_mul_f64_e32 v[101:102], v[66:67], v[147:148]
	v_mul_f64_e32 v[103:104], v[82:83], v[151:152]
	v_fma_f64 v[8:9], v[8:9], v[107:108], v[60:61]
	v_fma_f64 v[76:77], v[12:13], v[129:130], v[109:110]
	v_fma_f64 v[78:79], v[16:17], v[133:134], v[111:112]
	v_fma_f64 v[72:73], v[14:15], v[137:138], v[70:71]
	v_fma_f64 v[74:75], v[18:19], v[141:142], v[153:154]
	v_fma_f64 v[66:67], v[66:67], v[145:146], v[155:156]
	v_fma_f64 v[70:71], v[82:83], v[149:150], v[161:162]
	v_add_f64_e32 v[12:13], v[24:25], v[20:21]
	v_add_f64_e64 v[14:15], v[24:25], -v[20:21]
	v_add_f64_e32 v[18:19], v[26:27], v[22:23]
	v_add_f64_e64 v[60:61], v[26:27], -v[22:23]
	v_fma_f64 v[58:59], v[58:59], v[125:126], v[127:128]
	v_fma_f64 v[82:83], v[28:29], v[129:130], -v[88:89]
	v_fma_f64 v[28:29], v[32:33], v[133:134], -v[90:91]
	v_fma_f64 v[16:17], v[80:81], -0.5, v[36:37]
	v_fma_f64 v[107:108], v[84:85], -0.5, v[62:63]
	v_add_f64_e32 v[109:110], v[86:87], v[157:158]
	v_add_f64_e64 v[121:122], v[86:87], -v[157:158]
	v_fma_f64 v[80:81], v[30:31], v[137:138], -v[92:93]
	v_fma_f64 v[56:57], v[56:57], -0.5, v[38:39]
	v_fma_f64 v[30:31], v[34:35], v[141:142], -v[99:100]
	v_fma_f64 v[84:85], v[52:53], v[145:146], -v[101:102]
	;; [unrolled: 1-line block ×3, first 2 shown]
	v_add_f64_e64 v[54:55], v[64:65], -v[40:41]
	v_add_f64_e32 v[52:53], v[76:77], v[78:79]
	v_add_f64_e64 v[92:93], v[68:69], -v[42:43]
	v_add_f64_e32 v[88:89], v[72:73], v[74:75]
	v_add_f64_e32 v[90:91], v[66:67], v[70:71]
	v_fma_f64 v[12:13], v[12:13], -0.5, v[8:9]
	v_add_f64_e32 v[8:9], v[8:9], v[24:25]
	v_add_f64_e32 v[24:25], v[6:7], v[72:73]
	s_wait_alu 0xfffe
	v_fma_f64 v[111:112], v[14:15], s[10:11], v[16:17]
	v_fma_f64 v[103:104], v[14:15], s[4:5], v[16:17]
	v_fma_f64 v[14:15], v[18:19], -0.5, v[10:11]
	v_add_f64_e64 v[16:17], v[46:47], -v[44:45]
	v_fma_f64 v[105:106], v[60:61], s[10:11], v[107:108]
	v_fma_f64 v[107:108], v[60:61], s[4:5], v[107:108]
	v_fma_f64 v[18:19], v[109:110], -0.5, v[58:59]
	v_fma_f64 v[101:102], v[121:122], s[10:11], v[56:57]
	v_fma_f64 v[34:35], v[121:122], s[4:5], v[56:57]
	v_add_f64_e32 v[56:57], v[4:5], v[76:77]
	v_add_f64_e64 v[60:61], v[82:83], -v[28:29]
	v_add_f64_e64 v[121:122], v[80:81], -v[30:31]
	v_add_f64_e32 v[10:11], v[10:11], v[26:27]
	v_add_f64_e32 v[26:27], v[50:51], v[66:67]
	v_add_f64_e64 v[123:124], v[84:85], -v[32:33]
	v_add_f64_e32 v[58:59], v[58:59], v[86:87]
	v_fma_f64 v[4:5], v[52:53], -0.5, v[4:5]
	v_fma_f64 v[6:7], v[88:89], -0.5, v[6:7]
	;; [unrolled: 1-line block ×3, first 2 shown]
	v_fma_f64 v[109:110], v[54:55], s[4:5], v[12:13]
	v_fma_f64 v[86:87], v[54:55], s[10:11], v[12:13]
	v_add_f64_e32 v[8:9], v[8:9], v[20:21]
	v_add_f64_e32 v[20:21], v[24:25], v[74:75]
	v_mul_f64_e32 v[12:13], s[4:5], v[111:112]
	v_mul_f64_e32 v[52:53], s[4:5], v[103:104]
	v_fma_f64 v[88:89], v[92:93], s[4:5], v[14:15]
	v_fma_f64 v[90:91], v[92:93], s[10:11], v[14:15]
	v_mul_f64_e32 v[14:15], s[4:5], v[105:106]
	v_mul_f64_e32 v[54:55], s[4:5], v[107:108]
	v_fma_f64 v[92:93], v[16:17], s[4:5], v[18:19]
	v_fma_f64 v[99:100], v[16:17], s[10:11], v[18:19]
	v_mul_f64_e32 v[16:17], s[4:5], v[101:102]
	v_mul_f64_e32 v[18:19], s[4:5], v[34:35]
	v_add_f64_e32 v[56:57], v[56:57], v[78:79]
	v_add_f64_e32 v[10:11], v[10:11], v[22:23]
	;; [unrolled: 1-line block ×4, first 2 shown]
	v_fma_f64 v[26:27], v[60:61], s[4:5], v[4:5]
	v_fma_f64 v[4:5], v[60:61], s[10:11], v[4:5]
	v_fma_f64 v[60:61], v[121:122], s[4:5], v[6:7]
	v_fma_f64 v[6:7], v[121:122], s[10:11], v[6:7]
	v_fma_f64 v[121:122], v[123:124], s[4:5], v[50:51]
	v_fma_f64 v[123:124], v[123:124], s[10:11], v[50:51]
	v_fma_f64 v[12:13], v[109:110], 0.5, v[12:13]
	v_fma_f64 v[52:53], v[86:87], -0.5, v[52:53]
	v_fma_f64 v[14:15], v[88:89], 0.5, v[14:15]
	v_fma_f64 v[54:55], v[90:91], -0.5, v[54:55]
	;; [unrolled: 2-line block ×3, first 2 shown]
	v_add_f64_e32 v[125:126], v[56:57], v[8:9]
	v_add_f64_e64 v[8:9], v[56:57], -v[8:9]
	v_add_f64_e32 v[127:128], v[20:21], v[10:11]
	v_add_f64_e64 v[10:11], v[20:21], -v[10:11]
	;; [unrolled: 2-line block ×3, first 2 shown]
	v_add_f64_e32 v[20:21], v[26:27], v[12:13]
	v_add_f64_e32 v[22:23], v[4:5], v[52:53]
	v_add_f64_e64 v[12:13], v[26:27], -v[12:13]
	v_add_f64_e64 v[4:5], v[4:5], -v[52:53]
	v_add_f64_e32 v[24:25], v[60:61], v[14:15]
	v_add_f64_e32 v[26:27], v[6:7], v[54:55]
	v_add_f64_e64 v[14:15], v[60:61], -v[14:15]
	v_add_f64_e64 v[6:7], v[6:7], -v[54:55]
	;; [unrolled: 4-line block ×3, first 2 shown]
	v_and_b32_e32 v16, 0xffff, v115
	v_and_b32_e32 v17, 0xffff, v163
	v_lshlrev_b32_e32 v18, 3, v165
	v_lshlrev_b32_e32 v19, 3, v166
	v_mul_lo_u16 v121, v164, 18
	v_mul_u32_u24_e32 v16, 0x90, v16
	v_mul_u32_u24_e32 v17, 0x90, v17
	v_lshlrev_b32_e32 v122, 3, v167
	s_delay_alu instid0(VALU_DEP_3) | instskip(NEXT) | instid1(VALU_DEP_3)
	v_add3_u32 v124, 0, v16, v18
	v_add3_u32 v123, 0, v17, v19
	ds_store_2addr_b64 v124, v[125:126], v[20:21] offset1:3
	ds_store_2addr_b64 v124, v[22:23], v[8:9] offset0:6 offset1:9
	ds_store_2addr_b64 v124, v[12:13], v[4:5] offset0:12 offset1:15
	ds_store_2addr_b64 v123, v[127:128], v[24:25] offset1:3
	ds_store_2addr_b64 v123, v[26:27], v[10:11] offset0:6 offset1:9
	ds_store_2addr_b64 v123, v[14:15], v[6:7] offset0:12 offset1:15
	s_and_saveexec_b32 s1, s0
	s_cbranch_execz .LBB0_25
; %bb.24:
	v_and_b32_e32 v4, 0xffff, v121
	s_delay_alu instid0(VALU_DEP_1) | instskip(NEXT) | instid1(VALU_DEP_1)
	v_lshlrev_b32_e32 v4, 3, v4
	v_add3_u32 v4, 0, v122, v4
	ds_store_2addr_b64 v4, v[50:51], v[56:57] offset1:3
	ds_store_2addr_b64 v4, v[52:53], v[58:59] offset0:6 offset1:9
	ds_store_2addr_b64 v4, v[54:55], v[60:61] offset0:12 offset1:15
.LBB0_25:
	s_wait_alu 0xfffe
	s_or_b32 exec_lo, exec_lo, s1
	v_add_nc_u32_e32 v8, 0x800, v114
	v_add_nc_u32_e32 v12, 0x1000, v114
	;; [unrolled: 1-line block ×5, first 2 shown]
	global_wb scope:SCOPE_SE
	s_wait_dscnt 0x0
	s_barrier_signal -1
	s_barrier_wait -1
	global_inv scope:SCOPE_SE
	ds_load_2addr_b64 v[4:7], v114 offset1:108
	ds_load_2addr_b64 v[8:11], v8 offset0:32 offset1:140
	ds_load_2addr_b64 v[12:15], v12 offset0:64 offset1:172
	;; [unrolled: 1-line block ×5, first 2 shown]
	v_lshl_add_u32 v115, v113, 3, 0
	s_and_saveexec_b32 s1, s0
	s_cbranch_execz .LBB0_27
; %bb.26:
	ds_load_b64 v[56:57], v114 offset:4032
	ds_load_b64 v[52:53], v114 offset:6336
	ds_load_b64 v[58:59], v114 offset:8640
	ds_load_b64 v[54:55], v114 offset:10944
	ds_load_b64 v[50:51], v115 offset:1728
	ds_load_b64 v[60:61], v114 offset:13248
.LBB0_27:
	s_wait_alu 0xfffe
	s_or_b32 exec_lo, exec_lo, s1
	v_add_f64_e32 v[125:126], v[82:83], v[28:29]
	v_add_f64_e32 v[127:128], v[80:81], v[30:31]
	v_add_f64_e32 v[129:130], v[84:85], v[32:33]
	v_add_f64_e32 v[82:83], v[0:1], v[82:83]
	v_add_f64_e64 v[76:77], v[76:77], -v[78:79]
	v_add_f64_e32 v[36:37], v[36:37], v[64:65]
	v_mul_f64_e32 v[64:65], 0.5, v[111:112]
	v_add_f64_e32 v[78:79], v[2:3], v[80:81]
	v_add_f64_e32 v[62:63], v[62:63], v[68:69]
	v_add_f64_e32 v[68:69], v[48:49], v[84:85]
	v_add_f64_e32 v[38:39], v[38:39], v[46:47]
	v_mul_f64_e32 v[46:47], -0.5, v[103:104]
	v_add_f64_e64 v[72:73], v[72:73], -v[74:75]
	v_mul_f64_e32 v[74:75], 0.5, v[105:106]
	v_mul_f64_e32 v[80:81], -0.5, v[107:108]
	v_add_f64_e64 v[66:67], v[66:67], -v[70:71]
	v_mul_f64_e32 v[70:71], 0.5, v[101:102]
	v_mul_f64_e32 v[34:35], -0.5, v[34:35]
	s_mov_b32 s4, 0xe8584caa
	s_mov_b32 s5, 0x3febb67a
	;; [unrolled: 1-line block ×3, first 2 shown]
	s_wait_alu 0xfffe
	s_mov_b32 s10, s4
	global_wb scope:SCOPE_SE
	s_wait_dscnt 0x0
	s_barrier_signal -1
	s_barrier_wait -1
	global_inv scope:SCOPE_SE
	v_fma_f64 v[0:1], v[125:126], -0.5, v[0:1]
	v_fma_f64 v[2:3], v[127:128], -0.5, v[2:3]
	;; [unrolled: 1-line block ×3, first 2 shown]
	v_add_f64_e32 v[28:29], v[82:83], v[28:29]
	v_add_f64_e32 v[36:37], v[36:37], v[40:41]
	v_fma_f64 v[40:41], v[109:110], s[4:5], v[64:65]
	v_add_f64_e32 v[30:31], v[78:79], v[30:31]
	v_add_f64_e32 v[42:43], v[62:63], v[42:43]
	;; [unrolled: 1-line block ×4, first 2 shown]
	v_fma_f64 v[44:45], v[86:87], s[4:5], v[46:47]
	v_fma_f64 v[62:63], v[88:89], s[4:5], v[74:75]
	;; [unrolled: 1-line block ×6, first 2 shown]
	s_wait_alu 0xfffe
	v_fma_f64 v[0:1], v[76:77], s[10:11], v[0:1]
	v_fma_f64 v[74:75], v[72:73], s[4:5], v[2:3]
	;; [unrolled: 1-line block ×5, first 2 shown]
	v_add_f64_e32 v[78:79], v[28:29], v[36:37]
	v_add_f64_e64 v[28:29], v[28:29], -v[36:37]
	v_add_f64_e32 v[36:37], v[30:31], v[42:43]
	v_add_f64_e64 v[30:31], v[30:31], -v[42:43]
	v_add_f64_e32 v[48:49], v[32:33], v[38:39]
	v_add_f64_e64 v[68:69], v[32:33], -v[38:39]
	v_add_f64_e32 v[32:33], v[46:47], v[40:41]
	v_add_f64_e32 v[38:39], v[0:1], v[44:45]
	v_add_f64_e64 v[40:41], v[46:47], -v[40:41]
	v_add_f64_e64 v[0:1], v[0:1], -v[44:45]
	v_add_f64_e32 v[42:43], v[74:75], v[62:63]
	v_add_f64_e32 v[44:45], v[2:3], v[64:65]
	v_add_f64_e64 v[46:47], v[74:75], -v[62:63]
	v_add_f64_e64 v[2:3], v[2:3], -v[64:65]
	;; [unrolled: 4-line block ×3, first 2 shown]
	ds_store_2addr_b64 v124, v[78:79], v[32:33] offset1:3
	ds_store_2addr_b64 v124, v[38:39], v[28:29] offset0:6 offset1:9
	ds_store_2addr_b64 v124, v[40:41], v[0:1] offset0:12 offset1:15
	ds_store_2addr_b64 v123, v[36:37], v[42:43] offset1:3
	ds_store_2addr_b64 v123, v[44:45], v[30:31] offset0:6 offset1:9
	ds_store_2addr_b64 v123, v[46:47], v[2:3] offset0:12 offset1:15
	s_and_saveexec_b32 s1, s0
	s_cbranch_execz .LBB0_29
; %bb.28:
	v_and_b32_e32 v0, 0xffff, v121
	s_delay_alu instid0(VALU_DEP_1) | instskip(NEXT) | instid1(VALU_DEP_1)
	v_lshlrev_b32_e32 v0, 3, v0
	v_add3_u32 v0, 0, v122, v0
	ds_store_2addr_b64 v0, v[48:49], v[66:67] offset1:3
	ds_store_2addr_b64 v0, v[62:63], v[68:69] offset0:6 offset1:9
	ds_store_2addr_b64 v0, v[64:65], v[70:71] offset0:12 offset1:15
.LBB0_29:
	s_wait_alu 0xfffe
	s_or_b32 exec_lo, exec_lo, s1
	v_add_nc_u32_e32 v28, 0x800, v114
	v_add_nc_u32_e32 v29, 0x1000, v114
	v_add_nc_u32_e32 v32, 0x1800, v114
	v_add_nc_u32_e32 v33, 0x2000, v114
	v_add_nc_u32_e32 v44, 0x2c00, v114
	global_wb scope:SCOPE_SE
	s_wait_dscnt 0x0
	s_barrier_signal -1
	s_barrier_wait -1
	global_inv scope:SCOPE_SE
	ds_load_2addr_b64 v[0:3], v114 offset1:108
	ds_load_2addr_b64 v[36:39], v28 offset0:32 offset1:140
	ds_load_2addr_b64 v[28:31], v29 offset0:64 offset1:172
	;; [unrolled: 1-line block ×5, first 2 shown]
	s_and_saveexec_b32 s1, s0
	s_cbranch_execz .LBB0_31
; %bb.30:
	ds_load_b64 v[66:67], v114 offset:4032
	ds_load_b64 v[62:63], v114 offset:6336
	;; [unrolled: 1-line block ×6, first 2 shown]
.LBB0_31:
	s_wait_alu 0xfffe
	s_or_b32 exec_lo, exec_lo, s1
	v_mul_lo_u16 v72, v119, 57
	v_mul_lo_u16 v73, v120, 57
	v_mul_u32_u24_e32 v111, 0xe38f, v118
	s_mov_b32 s4, 0xe8584caa
	s_mov_b32 s5, 0xbfebb67a
	v_lshrrev_b16 v154, 10, v72
	v_lshrrev_b16 v155, 10, v73
	v_lshrrev_b32_e32 v158, 20, v111
	s_mov_b32 s11, 0x3febb67a
	s_wait_alu 0xfffe
	s_mov_b32 s10, s4
	v_mul_lo_u16 v72, v154, 18
	v_mul_lo_u16 v73, v155, 18
	s_delay_alu instid0(VALU_DEP_2) | instskip(NEXT) | instid1(VALU_DEP_2)
	v_sub_nc_u16 v72, v113, v72
	v_sub_nc_u16 v73, v116, v73
	s_delay_alu instid0(VALU_DEP_2) | instskip(NEXT) | instid1(VALU_DEP_2)
	v_and_b32_e32 v156, 0xff, v72
	v_and_b32_e32 v157, 0xff, v73
	s_delay_alu instid0(VALU_DEP_2) | instskip(NEXT) | instid1(VALU_DEP_2)
	v_mul_u32_u24_e32 v72, 5, v156
	v_mul_u32_u24_e32 v73, 5, v157
	s_delay_alu instid0(VALU_DEP_2) | instskip(NEXT) | instid1(VALU_DEP_2)
	v_lshlrev_b32_e32 v72, 4, v72
	v_lshlrev_b32_e32 v73, 4, v73
	s_clause 0x9
	global_load_b128 v[74:77], v72, s[8:9] offset:272
	global_load_b128 v[78:81], v72, s[8:9] offset:304
	;; [unrolled: 1-line block ×10, first 2 shown]
	v_mul_lo_u16 v72, v158, 18
	s_delay_alu instid0(VALU_DEP_1) | instskip(NEXT) | instid1(VALU_DEP_1)
	v_sub_nc_u16 v72, v117, v72
	v_and_b32_e32 v159, 0xffff, v72
	s_delay_alu instid0(VALU_DEP_1) | instskip(NEXT) | instid1(VALU_DEP_1)
	v_mul_u32_u24_e32 v72, 5, v159
	v_lshlrev_b32_e32 v72, 4, v72
	s_clause 0x4
	global_load_b128 v[126:129], v72, s[8:9] offset:272
	global_load_b128 v[130:133], v72, s[8:9] offset:304
	;; [unrolled: 1-line block ×5, first 2 shown]
	global_wb scope:SCOPE_SE
	s_wait_loadcnt_dscnt 0x0
	s_barrier_signal -1
	s_barrier_wait -1
	global_inv scope:SCOPE_SE
	v_mul_f64_e32 v[72:73], v[20:21], v[76:77]
	v_mul_f64_e32 v[111:112], v[24:25], v[80:81]
	;; [unrolled: 1-line block ×10, first 2 shown]
	v_fma_f64 v[72:73], v[40:41], v[74:75], -v[72:73]
	v_fma_f64 v[40:41], v[44:45], v[78:79], -v[111:112]
	v_mul_f64_e32 v[111:112], v[10:11], v[101:102]
	v_fma_f64 v[44:45], v[42:43], v[82:83], -v[116:117]
	v_fma_f64 v[42:43], v[46:47], v[86:87], -v[146:147]
	v_mul_f64_e32 v[46:47], v[36:37], v[92:93]
	v_mul_f64_e32 v[92:93], v[38:39], v[101:102]
	;; [unrolled: 1-line block ×5, first 2 shown]
	v_fma_f64 v[74:75], v[20:21], v[74:75], v[76:77]
	v_fma_f64 v[152:153], v[24:25], v[78:79], v[80:81]
	v_fma_f64 v[24:25], v[36:37], v[90:91], -v[148:149]
	v_fma_f64 v[82:83], v[22:23], v[82:83], v[84:85]
	v_fma_f64 v[84:85], v[26:27], v[86:87], v[88:89]
	v_mul_f64_e32 v[76:77], v[16:17], v[120:121]
	v_mul_f64_e32 v[78:79], v[14:15], v[109:110]
	;; [unrolled: 1-line block ×7, first 2 shown]
	v_add_f64_e32 v[36:37], v[72:73], v[40:41]
	v_fma_f64 v[20:21], v[38:39], v[99:100], -v[111:112]
	v_mul_f64_e32 v[38:39], v[12:13], v[105:106]
	v_add_f64_e32 v[26:27], v[44:45], v[42:43]
	v_mul_f64_e32 v[105:106], v[70:71], v[132:133]
	v_fma_f64 v[46:47], v[8:9], v[90:91], v[46:47]
	v_fma_f64 v[22:23], v[12:13], v[103:104], v[101:102]
	;; [unrolled: 1-line block ×5, first 2 shown]
	v_add_f64_e32 v[90:91], v[74:75], v[152:153]
	v_add_f64_e64 v[101:102], v[74:75], -v[152:153]
	v_fma_f64 v[92:93], v[10:11], v[99:100], v[92:93]
	v_add_f64_e32 v[99:100], v[82:83], v[84:85]
	v_add_f64_e64 v[111:112], v[82:83], -v[84:85]
	v_mul_f64_e32 v[116:117], v[66:67], v[136:137]
	v_fma_f64 v[14:15], v[32:33], v[118:119], -v[76:77]
	v_fma_f64 v[18:19], v[30:31], v[107:108], -v[78:79]
	;; [unrolled: 1-line block ×3, first 2 shown]
	v_fma_f64 v[78:79], v[58:59], v[126:127], v[86:87]
	v_fma_f64 v[34:35], v[68:69], v[126:127], -v[88:89]
	v_fma_f64 v[32:33], v[70:71], v[130:131], -v[109:110]
	v_add_f64_e64 v[58:59], v[72:73], -v[40:41]
	v_add_f64_e64 v[88:89], v[44:45], -v[42:43]
	v_mul_f64_e32 v[107:108], v[62:63], v[140:141]
	v_mul_f64_e32 v[109:110], v[52:53], v[140:141]
	v_fma_f64 v[36:37], v[36:37], -0.5, v[24:25]
	v_fma_f64 v[28:29], v[28:29], v[103:104], -v[38:39]
	v_fma_f64 v[26:27], v[26:27], -0.5, v[20:21]
	v_fma_f64 v[76:77], v[60:61], v[130:131], v[105:106]
	v_add_f64_e32 v[38:39], v[22:23], v[16:17]
	v_add_f64_e32 v[60:61], v[8:9], v[12:13]
	v_fma_f64 v[86:87], v[90:91], -0.5, v[46:47]
	v_add_f64_e32 v[46:47], v[46:47], v[74:75]
	v_add_f64_e32 v[82:83], v[92:93], v[82:83]
	v_fma_f64 v[90:91], v[99:100], -0.5, v[92:93]
	v_fma_f64 v[80:81], v[56:57], v[134:135], v[116:117]
	v_add_f64_e32 v[56:57], v[4:5], v[22:23]
	v_mul_f64_e32 v[116:117], v[54:55], v[144:145]
	v_add_f64_e64 v[103:104], v[18:19], -v[10:11]
	v_add_f64_e32 v[105:106], v[34:35], v[32:33]
	v_add_f64_e64 v[118:119], v[34:35], -v[32:33]
	v_fma_f64 v[62:63], v[62:63], v[138:139], -v[109:110]
	s_wait_alu 0xfffe
	v_fma_f64 v[70:71], v[101:102], s[10:11], v[36:37]
	v_fma_f64 v[68:69], v[101:102], s[4:5], v[36:37]
	v_fma_f64 v[36:37], v[66:67], v[134:135], -v[120:121]
	v_fma_f64 v[30:31], v[111:112], s[10:11], v[26:27]
	v_fma_f64 v[26:27], v[111:112], s[4:5], v[26:27]
	v_add_f64_e64 v[99:100], v[28:29], -v[14:15]
	v_add_f64_e32 v[101:102], v[6:7], v[8:9]
	v_add_f64_e32 v[92:93], v[78:79], v[76:77]
	v_fma_f64 v[38:39], v[38:39], -0.5, v[4:5]
	v_fma_f64 v[60:61], v[60:61], -0.5, v[6:7]
	v_fma_f64 v[74:75], v[58:59], s[4:5], v[86:87]
	v_fma_f64 v[4:5], v[58:59], s[10:11], v[86:87]
	v_mul_f64_e32 v[111:112], v[64:65], v[144:145]
	v_fma_f64 v[6:7], v[88:89], s[4:5], v[90:91]
	v_fma_f64 v[66:67], v[88:89], s[10:11], v[90:91]
	v_add_f64_e64 v[120:121], v[78:79], -v[76:77]
	v_add_f64_e32 v[122:123], v[56:57], v[16:17]
	v_add_f64_e32 v[46:47], v[46:47], v[152:153]
	;; [unrolled: 1-line block ×3, first 2 shown]
	v_fma_f64 v[56:57], v[52:53], v[138:139], v[107:108]
	v_mul_f64_e32 v[58:59], s[4:5], v[70:71]
	v_mul_f64_e32 v[86:87], s[4:5], v[68:69]
	;; [unrolled: 1-line block ×4, first 2 shown]
	v_add_f64_e32 v[101:102], v[101:102], v[12:13]
	v_fma_f64 v[84:85], v[92:93], -0.5, v[80:81]
	v_fma_f64 v[92:93], v[105:106], -0.5, v[36:37]
	v_fma_f64 v[105:106], v[99:100], s[4:5], v[38:39]
	v_fma_f64 v[126:127], v[103:104], s[4:5], v[60:61]
	;; [unrolled: 1-line block ×4, first 2 shown]
	v_fma_f64 v[38:39], v[64:65], v[142:143], -v[116:117]
	v_and_b32_e32 v64, 0xffff, v154
	v_and_b32_e32 v65, 0xffff, v155
	v_add_f64_e32 v[103:104], v[122:123], v[46:47]
	v_add_f64_e64 v[107:108], v[122:123], -v[46:47]
	v_fma_f64 v[124:125], v[74:75], 0.5, v[58:59]
	v_fma_f64 v[86:87], v[4:5], -0.5, v[86:87]
	v_fma_f64 v[58:59], v[54:55], v[142:143], v[111:112]
	v_fma_f64 v[88:89], v[6:7], 0.5, v[88:89]
	v_fma_f64 v[90:91], v[66:67], -0.5, v[90:91]
	v_add_f64_e32 v[109:110], v[101:102], v[82:83]
	v_fma_f64 v[46:47], v[118:119], s[4:5], v[84:85]
	v_fma_f64 v[52:53], v[118:119], s[10:11], v[84:85]
	;; [unrolled: 1-line block ×3, first 2 shown]
	v_add_f64_e64 v[101:102], v[101:102], -v[82:83]
	v_mul_u32_u24_e32 v82, 0x360, v64
	v_lshlrev_b32_e32 v83, 3, v156
	v_lshlrev_b32_e32 v64, 3, v159
	s_delay_alu instid0(VALU_DEP_2)
	v_add3_u32 v83, 0, v82, v83
	v_add_f64_e32 v[84:85], v[105:106], v[124:125]
	v_add_f64_e32 v[111:112], v[99:100], v[86:87]
	v_add_f64_e64 v[105:106], v[105:106], -v[124:125]
	v_add_f64_e64 v[86:87], v[99:100], -v[86:87]
	v_add_f64_e32 v[116:117], v[60:61], v[90:91]
	v_add_f64_e64 v[90:91], v[60:61], -v[90:91]
	v_fma_f64 v[60:61], v[120:121], s[4:5], v[92:93]
	v_add_f64_e32 v[99:100], v[126:127], v[88:89]
	v_add_f64_e64 v[88:89], v[126:127], -v[88:89]
	v_mul_u32_u24_e32 v92, 0x360, v65
	v_lshlrev_b32_e32 v93, 3, v157
	v_mul_lo_u16 v65, 0x6c, v158
	s_delay_alu instid0(VALU_DEP_2)
	v_add3_u32 v82, 0, v92, v93
	ds_store_2addr_b64 v83, v[103:104], v[84:85] offset1:18
	ds_store_2addr_b64 v83, v[111:112], v[107:108] offset0:36 offset1:54
	ds_store_2addr_b64 v83, v[105:106], v[86:87] offset0:72 offset1:90
	ds_store_2addr_b64 v82, v[109:110], v[99:100] offset1:18
	ds_store_2addr_b64 v82, v[116:117], v[101:102] offset0:36 offset1:54
	ds_store_2addr_b64 v82, v[88:89], v[90:91] offset0:72 offset1:90
	s_and_saveexec_b32 s1, s0
	s_cbranch_execz .LBB0_33
; %bb.32:
	v_add_f64_e32 v[84:85], v[56:57], v[58:59]
	v_add_f64_e64 v[86:87], v[62:63], -v[38:39]
	v_mul_f64_e32 v[88:89], s[4:5], v[60:61]
	v_add_f64_e32 v[90:91], v[50:51], v[56:57]
	v_add_f64_e32 v[78:79], v[80:81], v[78:79]
	v_mul_f64_e32 v[80:81], s[4:5], v[54:55]
	v_fma_f64 v[50:51], v[84:85], -0.5, v[50:51]
	v_fma_f64 v[84:85], v[52:53], -0.5, v[88:89]
	v_add_f64_e32 v[88:89], v[90:91], v[58:59]
	v_add_f64_e32 v[76:77], v[78:79], v[76:77]
	v_fma_f64 v[78:79], v[46:47], 0.5, v[80:81]
	v_fma_f64 v[80:81], v[86:87], s[10:11], v[50:51]
	v_fma_f64 v[50:51], v[86:87], s[4:5], v[50:51]
	s_delay_alu instid0(VALU_DEP_4) | instskip(SKIP_1) | instid1(VALU_DEP_4)
	v_add_f64_e64 v[86:87], v[88:89], -v[76:77]
	v_add_f64_e32 v[76:77], v[88:89], v[76:77]
	v_add_f64_e64 v[88:89], v[80:81], -v[84:85]
	s_delay_alu instid0(VALU_DEP_4) | instskip(SKIP_3) | instid1(VALU_DEP_1)
	v_add_f64_e32 v[90:91], v[50:51], v[78:79]
	v_add_f64_e32 v[80:81], v[80:81], v[84:85]
	v_add_f64_e64 v[50:51], v[50:51], -v[78:79]
	v_and_b32_e32 v78, 0xffff, v65
	v_lshlrev_b32_e32 v78, 3, v78
	s_delay_alu instid0(VALU_DEP_1)
	v_add3_u32 v78, 0, v64, v78
	ds_store_2addr_b64 v78, v[76:77], v[90:91] offset1:18
	ds_store_2addr_b64 v78, v[80:81], v[86:87] offset0:36 offset1:54
	ds_store_2addr_b64 v78, v[50:51], v[88:89] offset0:72 offset1:90
.LBB0_33:
	s_wait_alu 0xfffe
	s_or_b32 exec_lo, exec_lo, s1
	v_add_f64_e32 v[50:51], v[28:29], v[14:15]
	v_add_f64_e32 v[76:77], v[18:19], v[10:11]
	;; [unrolled: 1-line block ×3, first 2 shown]
	v_add_f64_e64 v[16:17], v[22:23], -v[16:17]
	v_add_f64_e32 v[22:23], v[24:25], v[72:73]
	v_mul_f64_e32 v[24:25], 0.5, v[70:71]
	v_add_f64_e32 v[18:19], v[2:3], v[18:19]
	v_add_f64_e32 v[20:21], v[20:21], v[44:45]
	v_mul_f64_e32 v[44:45], -0.5, v[68:69]
	v_add_f64_e64 v[8:9], v[8:9], -v[12:13]
	v_mul_f64_e32 v[12:13], 0.5, v[30:31]
	v_mul_f64_e32 v[26:27], -0.5, v[26:27]
	global_wb scope:SCOPE_SE
	s_wait_dscnt 0x0
	s_barrier_signal -1
	s_barrier_wait -1
	global_inv scope:SCOPE_SE
	v_fma_f64 v[0:1], v[50:51], -0.5, v[0:1]
	v_fma_f64 v[2:3], v[76:77], -0.5, v[2:3]
	v_add_f64_e32 v[14:15], v[28:29], v[14:15]
	v_add_nc_u32_e32 v28, 0x2c00, v114
	v_add_f64_e32 v[22:23], v[22:23], v[40:41]
	v_fma_f64 v[24:25], v[74:75], s[10:11], v[24:25]
	v_add_f64_e32 v[10:11], v[18:19], v[10:11]
	v_add_f64_e32 v[18:19], v[20:21], v[42:43]
	v_fma_f64 v[4:5], v[4:5], s[10:11], v[44:45]
	v_fma_f64 v[6:7], v[6:7], s[10:11], v[12:13]
	;; [unrolled: 1-line block ×7, first 2 shown]
	v_add_f64_e32 v[40:41], v[14:15], v[22:23]
	v_add_f64_e64 v[42:43], v[14:15], -v[22:23]
	v_add_f64_e32 v[44:45], v[10:11], v[18:19]
	v_add_f64_e64 v[50:51], v[10:11], -v[18:19]
	v_add_f64_e32 v[66:67], v[20:21], v[24:25]
	v_add_f64_e32 v[68:69], v[0:1], v[4:5]
	v_add_f64_e64 v[70:71], v[20:21], -v[24:25]
	v_add_f64_e64 v[72:73], v[0:1], -v[4:5]
	v_add_f64_e32 v[74:75], v[16:17], v[6:7]
	v_add_f64_e32 v[76:77], v[2:3], v[12:13]
	v_add_f64_e64 v[78:79], v[16:17], -v[6:7]
	v_add_f64_e64 v[80:81], v[2:3], -v[12:13]
	v_add_nc_u32_e32 v4, 0x400, v115
	v_add_nc_u32_e32 v5, 0xc00, v115
	;; [unrolled: 1-line block ×6, first 2 shown]
	ds_load_2addr_b64 v[0:3], v114 offset1:108
	ds_load_2addr_b64 v[8:11], v4 offset0:88 offset1:196
	ds_load_2addr_b64 v[16:19], v5 offset0:48 offset1:156
	;; [unrolled: 1-line block ×7, first 2 shown]
	global_wb scope:SCOPE_SE
	s_wait_dscnt 0x0
	s_barrier_signal -1
	s_barrier_wait -1
	global_inv scope:SCOPE_SE
	ds_store_2addr_b64 v83, v[40:41], v[66:67] offset1:18
	ds_store_2addr_b64 v83, v[68:69], v[42:43] offset0:36 offset1:54
	ds_store_2addr_b64 v83, v[70:71], v[72:73] offset0:72 offset1:90
	ds_store_2addr_b64 v82, v[44:45], v[74:75] offset1:18
	ds_store_2addr_b64 v82, v[76:77], v[50:51] offset0:36 offset1:54
	ds_store_2addr_b64 v82, v[78:79], v[80:81] offset0:72 offset1:90
	s_and_saveexec_b32 s1, s0
	s_cbranch_execz .LBB0_35
; %bb.34:
	v_add_f64_e32 v[40:41], v[62:63], v[38:39]
	v_add_f64_e32 v[42:43], v[48:49], v[62:63]
	v_add_f64_e64 v[44:45], v[56:57], -v[58:59]
	v_add_f64_e32 v[34:35], v[36:37], v[34:35]
	v_mul_f64_e32 v[36:37], 0.5, v[54:55]
	v_mul_f64_e32 v[50:51], -0.5, v[60:61]
	s_mov_b32 s4, 0xe8584caa
	s_mov_b32 s5, 0x3febb67a
	;; [unrolled: 1-line block ×3, first 2 shown]
	s_wait_alu 0xfffe
	s_mov_b32 s10, s4
	v_fma_f64 v[40:41], v[40:41], -0.5, v[48:49]
	v_add_f64_e32 v[38:39], v[42:43], v[38:39]
	v_add_f64_e32 v[32:33], v[34:35], v[32:33]
	v_fma_f64 v[34:35], v[46:47], s[4:5], v[36:37]
	v_fma_f64 v[36:37], v[52:53], s[4:5], v[50:51]
	;; [unrolled: 1-line block ×3, first 2 shown]
	s_wait_alu 0xfffe
	v_fma_f64 v[40:41], v[44:45], s[10:11], v[40:41]
	v_add_f64_e32 v[44:45], v[38:39], v[32:33]
	v_add_f64_e64 v[32:33], v[38:39], -v[32:33]
	s_delay_alu instid0(VALU_DEP_4) | instskip(NEXT) | instid1(VALU_DEP_4)
	v_add_f64_e32 v[38:39], v[42:43], v[34:35]
	v_add_f64_e32 v[46:47], v[40:41], v[36:37]
	v_add_f64_e64 v[34:35], v[42:43], -v[34:35]
	v_add_f64_e64 v[36:37], v[40:41], -v[36:37]
	v_and_b32_e32 v40, 0xffff, v65
	s_delay_alu instid0(VALU_DEP_1) | instskip(NEXT) | instid1(VALU_DEP_1)
	v_lshlrev_b32_e32 v40, 3, v40
	v_add3_u32 v40, 0, v64, v40
	ds_store_2addr_b64 v40, v[44:45], v[38:39] offset1:18
	ds_store_2addr_b64 v40, v[46:47], v[32:33] offset0:36 offset1:54
	ds_store_2addr_b64 v40, v[34:35], v[36:37] offset0:72 offset1:90
.LBB0_35:
	s_wait_alu 0xfffe
	s_or_b32 exec_lo, exec_lo, s1
	global_wb scope:SCOPE_SE
	s_wait_dscnt 0x0
	s_barrier_signal -1
	s_barrier_wait -1
	global_inv scope:SCOPE_SE
	s_and_saveexec_b32 s0, vcc_lo
	s_cbranch_execz .LBB0_37
; %bb.36:
	v_mul_u32_u24_e32 v32, 15, v113
	v_add_nc_u32_e32 v92, 0x400, v115
	v_add_nc_u32_e32 v111, 0x1800, v114
	;; [unrolled: 1-line block ×4, first 2 shown]
	v_lshlrev_b32_e32 v88, 4, v32
	v_add_nc_u32_e32 v123, 0x1000, v114
	v_add_nc_u32_e32 v153, 0x2c00, v114
	s_mov_b32 s0, 0x667f3bcd
	s_mov_b32 s1, 0x3fe6a09e
	s_clause 0xe
	global_load_b128 v[32:35], v88, s[8:9] offset:1696
	global_load_b128 v[36:39], v88, s[8:9] offset:1824
	;; [unrolled: 1-line block ×15, first 2 shown]
	ds_load_2addr_b64 v[99:102], v92 offset0:88 offset1:196
	v_add_nc_u32_e32 v92, 0x2000, v114
	ds_load_2addr_b64 v[107:110], v114 offset1:108
	s_mov_b32 s5, 0xbfe6a09e
	s_wait_alu 0xfffe
	s_mov_b32 s4, s0
	s_mov_b32 s8, 0xcf328d46
	ds_load_2addr_b64 v[103:106], v92 offset0:56 offset1:164
	ds_load_2addr_b64 v[111:114], v111 offset0:96 offset1:204
	ds_load_2addr_b64 v[115:118], v115 offset0:48 offset1:156
	ds_load_2addr_b64 v[119:122], v119 offset0:16 offset1:124
	ds_load_2addr_b64 v[123:126], v123 offset0:136 offset1:244
	s_mov_b32 s9, 0x3fed906b
	s_mov_b32 s10, 0xa6aea964
	;; [unrolled: 1-line block ×4, first 2 shown]
	s_wait_alu 0xfffe
	s_mov_b32 s12, s10
	s_mov_b32 s15, 0xbfed906b
	;; [unrolled: 1-line block ×3, first 2 shown]
	s_wait_loadcnt 0xe
	v_mul_f64_e32 v[92:93], v[8:9], v[34:35]
	s_wait_dscnt 0x6
	v_mul_f64_e32 v[34:35], v[99:100], v[34:35]
	s_wait_loadcnt 0xd
	v_mul_f64_e32 v[127:128], v[12:13], v[38:39]
	s_wait_dscnt 0x4
	v_mul_f64_e32 v[38:39], v[103:104], v[38:39]
	s_wait_loadcnt 0xc
	v_mul_f64_e32 v[129:130], v[24:25], v[40:41]
	v_mul_f64_e32 v[24:25], v[24:25], v[42:43]
	s_wait_loadcnt 0xb
	v_mul_f64_e32 v[131:132], v[4:5], v[46:47]
	s_wait_loadcnt 0xa
	;; [unrolled: 2-line block ×4, first 2 shown]
	v_mul_f64_e32 v[137:138], v[28:29], v[56:57]
	v_mul_f64_e32 v[28:29], v[28:29], v[58:59]
	s_wait_loadcnt 0x7
	v_mul_f64_e32 v[139:140], v[2:3], v[62:63]
	s_wait_loadcnt 0x6
	;; [unrolled: 2-line block ×7, first 2 shown]
	v_mul_f64_e32 v[151:152], v[26:27], v[84:85]
	v_mul_f64_e32 v[26:27], v[26:27], v[86:87]
	;; [unrolled: 1-line block ×5, first 2 shown]
	v_fma_f64 v[92:93], v[99:100], v[32:33], -v[92:93]
	v_fma_f64 v[8:9], v[8:9], v[32:33], v[34:35]
	s_wait_loadcnt 0x0
	v_mul_f64_e32 v[32:33], v[30:31], v[88:89]
	v_mul_f64_e32 v[34:35], v[101:102], v[78:79]
	;; [unrolled: 1-line block ×4, first 2 shown]
	v_fma_f64 v[82:83], v[103:104], v[36:37], -v[127:128]
	v_fma_f64 v[12:13], v[12:13], v[36:37], v[38:39]
	s_wait_dscnt 0x3
	v_mul_f64_e32 v[36:37], v[113:114], v[66:67]
	v_mul_f64_e32 v[38:39], v[18:19], v[70:71]
	;; [unrolled: 1-line block ×3, first 2 shown]
	s_wait_dscnt 0x0
	v_fma_f64 v[24:25], v[123:124], v[40:41], -v[24:25]
	v_mul_f64_e32 v[40:41], v[111:112], v[46:47]
	ds_load_2addr_b64 v[16:19], v153 offset0:104 offset1:212
	v_fma_f64 v[42:43], v[123:124], v[42:43], v[129:130]
	v_fma_f64 v[46:47], v[111:112], v[44:45], -v[131:132]
	v_fma_f64 v[50:51], v[115:116], v[50:51], v[133:134]
	v_fma_f64 v[54:55], v[119:120], v[54:55], v[135:136]
	;; [unrolled: 1-line block ×4, first 2 shown]
	v_fma_f64 v[99:100], v[101:102], v[76:77], -v[147:148]
	v_fma_f64 v[101:102], v[105:106], v[80:81], -v[149:150]
	v_fma_f64 v[86:87], v[125:126], v[86:87], v[151:152]
	v_fma_f64 v[26:27], v[125:126], v[84:85], -v[26:27]
	v_fma_f64 v[2:3], v[2:3], v[60:61], v[62:63]
	v_fma_f64 v[22:23], v[121:122], v[72:73], -v[22:23]
	v_fma_f64 v[20:21], v[119:120], v[52:53], -v[20:21]
	s_wait_dscnt 0x0
	v_fma_f64 v[58:59], v[16:17], v[58:59], v[137:138]
	v_fma_f64 v[16:17], v[16:17], v[56:57], -v[28:29]
	v_fma_f64 v[28:29], v[109:110], v[60:61], -v[139:140]
	;; [unrolled: 1-line block ×3, first 2 shown]
	v_fma_f64 v[32:33], v[18:19], v[90:91], v[32:33]
	v_fma_f64 v[10:11], v[10:11], v[76:77], v[34:35]
	;; [unrolled: 1-line block ×3, first 2 shown]
	v_fma_f64 v[18:19], v[18:19], v[88:89], -v[30:31]
	v_add_f64_e64 v[12:13], v[8:9], -v[12:13]
	v_fma_f64 v[6:7], v[6:7], v[64:65], v[36:37]
	v_fma_f64 v[30:31], v[117:118], v[68:69], -v[38:39]
	v_fma_f64 v[34:35], v[115:116], v[48:49], -v[66:67]
	v_fma_f64 v[4:5], v[4:5], v[44:45], v[40:41]
	v_add_f64_e64 v[40:41], v[92:93], -v[82:83]
	v_add_f64_e64 v[36:37], v[107:108], -v[46:47]
	;; [unrolled: 1-line block ×11, first 2 shown]
	v_fma_f64 v[8:9], v[8:9], 2.0, -v[12:13]
	v_add_f64_e64 v[6:7], v[2:3], -v[6:7]
	v_add_f64_e64 v[22:23], v[30:31], -v[22:23]
	;; [unrolled: 1-line block ×4, first 2 shown]
	v_fma_f64 v[72:73], v[107:108], 2.0, -v[36:37]
	v_add_f64_e64 v[54:55], v[36:37], -v[38:39]
	v_add_f64_e64 v[56:57], v[40:41], -v[44:45]
	v_add_f64_e32 v[58:59], v[12:13], v[16:17]
	v_fma_f64 v[16:17], v[24:25], 2.0, -v[16:17]
	v_add_f64_e64 v[60:61], v[46:47], -v[48:49]
	v_fma_f64 v[24:25], v[70:71], 2.0, -v[48:49]
	v_fma_f64 v[28:29], v[28:29], 2.0, -v[46:47]
	v_add_f64_e64 v[62:63], v[52:53], -v[32:33]
	v_fma_f64 v[32:33], v[86:87], 2.0, -v[32:33]
	v_fma_f64 v[10:11], v[10:11], 2.0, -v[14:15]
	v_add_f64_e32 v[64:65], v[14:15], v[18:19]
	v_fma_f64 v[18:19], v[26:27], 2.0, -v[18:19]
	v_fma_f64 v[26:27], v[50:51], 2.0, -v[38:39]
	;; [unrolled: 1-line block ×3, first 2 shown]
	v_add_f64_e32 v[66:67], v[6:7], v[22:23]
	v_fma_f64 v[22:23], v[30:31], 2.0, -v[22:23]
	v_fma_f64 v[30:31], v[99:100], 2.0, -v[52:53]
	v_mov_b32_e32 v99, 0
	v_add_f64_e32 v[68:69], v[4:5], v[20:21]
	v_fma_f64 v[20:21], v[34:35], 2.0, -v[20:21]
	v_fma_f64 v[34:35], v[42:43], 2.0, -v[44:45]
	;; [unrolled: 1-line block ×8, first 2 shown]
	v_fma_f64 v[46:47], v[56:57], s[0:1], v[54:55]
	v_fma_f64 v[44:45], v[52:53], 2.0, -v[62:63]
	v_fma_f64 v[48:49], v[62:63], s[0:1], v[60:61]
	v_add_f64_e64 v[32:33], v[10:11], -v[32:33]
	v_fma_f64 v[14:15], v[14:15], 2.0, -v[64:65]
	v_add_f64_e64 v[24:25], v[2:3], -v[24:25]
	v_fma_f64 v[6:7], v[6:7], 2.0, -v[66:67]
	v_fma_f64 v[50:51], v[64:65], s[0:1], v[66:67]
	v_add_f64_e64 v[22:23], v[28:29], -v[22:23]
	v_add_f64_e64 v[18:19], v[30:31], -v[18:19]
	v_fma_f64 v[4:5], v[4:5], 2.0, -v[68:69]
	v_add_f64_e64 v[20:21], v[72:73], -v[20:21]
	v_fma_f64 v[52:53], v[58:59], s[0:1], v[68:69]
	v_add_f64_e64 v[16:17], v[42:43], -v[16:17]
	v_add_f64_e64 v[34:35], v[8:9], -v[34:35]
	;; [unrolled: 1-line block ×3, first 2 shown]
	v_fma_f64 v[70:71], v[38:39], s[4:5], v[36:37]
	v_fma_f64 v[46:47], v[58:59], s[4:5], v[46:47]
	;; [unrolled: 1-line block ×4, first 2 shown]
	v_fma_f64 v[10:11], v[10:11], 2.0, -v[32:33]
	v_fma_f64 v[2:3], v[2:3], 2.0, -v[24:25]
	v_fma_f64 v[76:77], v[14:15], s[4:5], v[6:7]
	v_fma_f64 v[50:51], v[62:63], s[0:1], v[50:51]
	v_add_f64_e64 v[32:33], v[22:23], -v[32:33]
	v_add_f64_e32 v[62:63], v[24:25], v[18:19]
	v_fma_f64 v[78:79], v[12:13], s[4:5], v[4:5]
	v_fma_f64 v[58:59], v[72:73], 2.0, -v[20:21]
	v_fma_f64 v[52:53], v[56:57], s[0:1], v[52:53]
	v_fma_f64 v[42:43], v[42:43], 2.0, -v[16:17]
	v_add_f64_e64 v[56:57], v[20:21], -v[34:35]
	v_add_f64_e32 v[64:65], v[26:27], v[16:17]
	v_fma_f64 v[0:1], v[0:1], 2.0, -v[26:27]
	v_fma_f64 v[8:9], v[8:9], 2.0, -v[34:35]
	;; [unrolled: 1-line block ×4, first 2 shown]
	v_fma_f64 v[70:71], v[12:13], s[4:5], v[70:71]
	v_fma_f64 v[28:29], v[14:15], s[4:5], v[74:75]
	v_fma_f64 v[12:13], v[60:61], 2.0, -v[48:49]
	v_add_f64_e64 v[10:11], v[2:3], -v[10:11]
	v_fma_f64 v[30:31], v[44:45], s[0:1], v[76:77]
	v_fma_f64 v[44:45], v[54:55], 2.0, -v[46:47]
	v_fma_f64 v[14:15], v[66:67], 2.0, -v[50:51]
	v_fma_f64 v[72:73], v[38:39], s[0:1], v[78:79]
	v_fma_f64 v[66:67], v[68:69], 2.0, -v[52:53]
	v_add_f64_e64 v[42:43], v[58:59], -v[42:43]
	v_fma_f64 v[54:55], v[20:21], 2.0, -v[56:57]
	v_fma_f64 v[20:21], v[22:23], 2.0, -v[32:33]
	;; [unrolled: 1-line block ×4, first 2 shown]
	v_add_f64_e64 v[68:69], v[0:1], -v[8:9]
	v_add_f64_e64 v[8:9], v[16:17], -v[18:19]
	v_fma_f64 v[18:19], v[62:63], s[0:1], v[64:65]
	v_fma_f64 v[24:25], v[50:51], s[8:9], v[52:53]
	v_fma_f64 v[74:75], v[36:37], 2.0, -v[70:71]
	v_fma_f64 v[34:35], v[40:41], 2.0, -v[28:29]
	v_fma_f64 v[26:27], v[28:29], s[12:13], v[70:71]
	v_fma_f64 v[88:89], v[2:3], 2.0, -v[10:11]
	v_fma_f64 v[36:37], v[6:7], 2.0, -v[30:31]
	v_fma_f64 v[6:7], v[32:33], s[0:1], v[56:57]
	v_fma_f64 v[40:41], v[12:13], s[10:11], v[44:45]
	v_fma_f64 v[76:77], v[4:5], 2.0, -v[72:73]
	v_fma_f64 v[4:5], v[48:49], s[8:9], v[46:47]
	v_fma_f64 v[82:83], v[14:15], s[10:11], v[66:67]
	;; [unrolled: 1-line block ×3, first 2 shown]
	v_fma_f64 v[58:59], v[58:59], 2.0, -v[42:43]
	v_fma_f64 v[78:79], v[20:21], s[4:5], v[54:55]
	v_add_f64_e64 v[10:11], v[42:43], -v[10:11]
	v_fma_f64 v[80:81], v[22:23], s[4:5], v[60:61]
	v_fma_f64 v[86:87], v[0:1], 2.0, -v[68:69]
	v_fma_f64 v[84:85], v[16:17], 2.0, -v[8:9]
	v_add_f64_e32 v[8:9], v[68:69], v[8:9]
	v_fma_f64 v[0:1], v[48:49], s[12:13], v[24:25]
	s_wait_alu 0xfffe
	v_fma_f64 v[90:91], v[34:35], s[14:15], v[74:75]
	v_fma_f64 v[6:7], v[62:63], s[4:5], v[6:7]
	;; [unrolled: 1-line block ×7, first 2 shown]
	v_mul_lo_u32 v32, s3, v96
	v_fma_f64 v[18:19], v[22:23], s[4:5], v[78:79]
	v_fma_f64 v[22:23], v[30:31], s[14:15], v[26:27]
	;; [unrolled: 1-line block ×4, first 2 shown]
	v_add_f64_e64 v[26:27], v[58:59], -v[84:85]
	v_add_f64_e64 v[24:25], v[86:87], -v[88:89]
	v_mul_lo_u32 v33, s2, v97
	v_mad_co_u64_u32 v[78:79], null, s2, v96, 0
	v_fma_f64 v[42:43], v[42:43], 2.0, -v[10:11]
	v_fma_f64 v[40:41], v[68:69], 2.0, -v[8:9]
	s_delay_alu instid0(VALU_DEP_3)
	v_add3_u32 v79, v79, v33, v32
	v_fma_f64 v[32:33], v[52:53], 2.0, -v[0:1]
	v_fma_f64 v[30:31], v[36:37], s[10:11], v[90:91]
	v_fma_f64 v[38:39], v[56:57], 2.0, -v[6:7]
	v_fma_f64 v[28:29], v[34:35], s[12:13], v[92:93]
	v_fma_f64 v[34:35], v[46:47], 2.0, -v[2:3]
	v_fma_f64 v[36:37], v[64:65], 2.0, -v[4:5]
	;; [unrolled: 1-line block ×10, first 2 shown]
	v_lshlrev_b64_e32 v[64:65], 4, v[78:79]
	v_lshlrev_b64_e32 v[66:67], 4, v[94:95]
	s_delay_alu instid0(VALU_DEP_2) | instskip(SKIP_1) | instid1(VALU_DEP_3)
	v_add_co_u32 v68, vcc_lo, s6, v64
	s_wait_alu 0xfffd
	v_add_co_ci_u32_e32 v69, vcc_lo, s7, v65, vcc_lo
	v_lshlrev_b64_e32 v[64:65], 4, v[98:99]
	s_delay_alu instid0(VALU_DEP_3) | instskip(SKIP_1) | instid1(VALU_DEP_3)
	v_add_co_u32 v66, vcc_lo, v68, v66
	s_wait_alu 0xfffd
	v_add_co_ci_u32_e32 v67, vcc_lo, v69, v67, vcc_lo
	v_fma_f64 v[62:63], v[74:75], 2.0, -v[30:31]
	s_delay_alu instid0(VALU_DEP_3) | instskip(SKIP_1) | instid1(VALU_DEP_3)
	v_add_co_u32 v64, vcc_lo, v66, v64
	s_wait_alu 0xfffd
	v_add_co_ci_u32_e32 v65, vcc_lo, v67, v65, vcc_lo
	v_fma_f64 v[60:61], v[76:77], 2.0, -v[28:29]
	s_clause 0xf
	global_store_b128 v[64:65], v[36:39], off offset:10368
	global_store_b128 v[64:65], v[32:35], off offset:12096
	;; [unrolled: 1-line block ×12, first 2 shown]
	global_store_b128 v[64:65], v[56:59], off
	global_store_b128 v[64:65], v[60:63], off offset:1728
	global_store_b128 v[64:65], v[4:7], off offset:24192
	;; [unrolled: 1-line block ×3, first 2 shown]
.LBB0_37:
	s_nop 0
	s_sendmsg sendmsg(MSG_DEALLOC_VGPRS)
	s_endpgm
	.section	.rodata,"a",@progbits
	.p2align	6, 0x0
	.amdhsa_kernel fft_rtc_back_len1728_factors_3_6_6_16_wgs_108_tpt_108_halfLds_dp_op_CI_CI_unitstride_sbrr_dirReg
		.amdhsa_group_segment_fixed_size 0
		.amdhsa_private_segment_fixed_size 0
		.amdhsa_kernarg_size 104
		.amdhsa_user_sgpr_count 2
		.amdhsa_user_sgpr_dispatch_ptr 0
		.amdhsa_user_sgpr_queue_ptr 0
		.amdhsa_user_sgpr_kernarg_segment_ptr 1
		.amdhsa_user_sgpr_dispatch_id 0
		.amdhsa_user_sgpr_private_segment_size 0
		.amdhsa_wavefront_size32 1
		.amdhsa_uses_dynamic_stack 0
		.amdhsa_enable_private_segment 0
		.amdhsa_system_sgpr_workgroup_id_x 1
		.amdhsa_system_sgpr_workgroup_id_y 0
		.amdhsa_system_sgpr_workgroup_id_z 0
		.amdhsa_system_sgpr_workgroup_info 0
		.amdhsa_system_vgpr_workitem_id 0
		.amdhsa_next_free_vgpr 168
		.amdhsa_next_free_sgpr 39
		.amdhsa_reserve_vcc 1
		.amdhsa_float_round_mode_32 0
		.amdhsa_float_round_mode_16_64 0
		.amdhsa_float_denorm_mode_32 3
		.amdhsa_float_denorm_mode_16_64 3
		.amdhsa_fp16_overflow 0
		.amdhsa_workgroup_processor_mode 1
		.amdhsa_memory_ordered 1
		.amdhsa_forward_progress 0
		.amdhsa_round_robin_scheduling 0
		.amdhsa_exception_fp_ieee_invalid_op 0
		.amdhsa_exception_fp_denorm_src 0
		.amdhsa_exception_fp_ieee_div_zero 0
		.amdhsa_exception_fp_ieee_overflow 0
		.amdhsa_exception_fp_ieee_underflow 0
		.amdhsa_exception_fp_ieee_inexact 0
		.amdhsa_exception_int_div_zero 0
	.end_amdhsa_kernel
	.text
.Lfunc_end0:
	.size	fft_rtc_back_len1728_factors_3_6_6_16_wgs_108_tpt_108_halfLds_dp_op_CI_CI_unitstride_sbrr_dirReg, .Lfunc_end0-fft_rtc_back_len1728_factors_3_6_6_16_wgs_108_tpt_108_halfLds_dp_op_CI_CI_unitstride_sbrr_dirReg
                                        ; -- End function
	.section	.AMDGPU.csdata,"",@progbits
; Kernel info:
; codeLenInByte = 10148
; NumSgprs: 41
; NumVgprs: 168
; ScratchSize: 0
; MemoryBound: 1
; FloatMode: 240
; IeeeMode: 1
; LDSByteSize: 0 bytes/workgroup (compile time only)
; SGPRBlocks: 5
; VGPRBlocks: 20
; NumSGPRsForWavesPerEU: 41
; NumVGPRsForWavesPerEU: 168
; Occupancy: 9
; WaveLimiterHint : 1
; COMPUTE_PGM_RSRC2:SCRATCH_EN: 0
; COMPUTE_PGM_RSRC2:USER_SGPR: 2
; COMPUTE_PGM_RSRC2:TRAP_HANDLER: 0
; COMPUTE_PGM_RSRC2:TGID_X_EN: 1
; COMPUTE_PGM_RSRC2:TGID_Y_EN: 0
; COMPUTE_PGM_RSRC2:TGID_Z_EN: 0
; COMPUTE_PGM_RSRC2:TIDIG_COMP_CNT: 0
	.text
	.p2alignl 7, 3214868480
	.fill 96, 4, 3214868480
	.type	__hip_cuid_4333b18b9d4656f7,@object ; @__hip_cuid_4333b18b9d4656f7
	.section	.bss,"aw",@nobits
	.globl	__hip_cuid_4333b18b9d4656f7
__hip_cuid_4333b18b9d4656f7:
	.byte	0                               ; 0x0
	.size	__hip_cuid_4333b18b9d4656f7, 1

	.ident	"AMD clang version 19.0.0git (https://github.com/RadeonOpenCompute/llvm-project roc-6.4.0 25133 c7fe45cf4b819c5991fe208aaa96edf142730f1d)"
	.section	".note.GNU-stack","",@progbits
	.addrsig
	.addrsig_sym __hip_cuid_4333b18b9d4656f7
	.amdgpu_metadata
---
amdhsa.kernels:
  - .args:
      - .actual_access:  read_only
        .address_space:  global
        .offset:         0
        .size:           8
        .value_kind:     global_buffer
      - .offset:         8
        .size:           8
        .value_kind:     by_value
      - .actual_access:  read_only
        .address_space:  global
        .offset:         16
        .size:           8
        .value_kind:     global_buffer
      - .actual_access:  read_only
        .address_space:  global
        .offset:         24
        .size:           8
        .value_kind:     global_buffer
      - .actual_access:  read_only
        .address_space:  global
        .offset:         32
        .size:           8
        .value_kind:     global_buffer
      - .offset:         40
        .size:           8
        .value_kind:     by_value
      - .actual_access:  read_only
        .address_space:  global
        .offset:         48
        .size:           8
        .value_kind:     global_buffer
      - .actual_access:  read_only
        .address_space:  global
        .offset:         56
        .size:           8
        .value_kind:     global_buffer
      - .offset:         64
        .size:           4
        .value_kind:     by_value
      - .actual_access:  read_only
        .address_space:  global
        .offset:         72
        .size:           8
        .value_kind:     global_buffer
      - .actual_access:  read_only
        .address_space:  global
        .offset:         80
        .size:           8
        .value_kind:     global_buffer
      - .actual_access:  read_only
        .address_space:  global
        .offset:         88
        .size:           8
        .value_kind:     global_buffer
      - .actual_access:  write_only
        .address_space:  global
        .offset:         96
        .size:           8
        .value_kind:     global_buffer
    .group_segment_fixed_size: 0
    .kernarg_segment_align: 8
    .kernarg_segment_size: 104
    .language:       OpenCL C
    .language_version:
      - 2
      - 0
    .max_flat_workgroup_size: 108
    .name:           fft_rtc_back_len1728_factors_3_6_6_16_wgs_108_tpt_108_halfLds_dp_op_CI_CI_unitstride_sbrr_dirReg
    .private_segment_fixed_size: 0
    .sgpr_count:     41
    .sgpr_spill_count: 0
    .symbol:         fft_rtc_back_len1728_factors_3_6_6_16_wgs_108_tpt_108_halfLds_dp_op_CI_CI_unitstride_sbrr_dirReg.kd
    .uniform_work_group_size: 1
    .uses_dynamic_stack: false
    .vgpr_count:     168
    .vgpr_spill_count: 0
    .wavefront_size: 32
    .workgroup_processor_mode: 1
amdhsa.target:   amdgcn-amd-amdhsa--gfx1201
amdhsa.version:
  - 1
  - 2
...

	.end_amdgpu_metadata
